;; amdgpu-corpus repo=ROCm/bitsandbytes kind=harvested arch=n/a opt=n/a
	.text
	.amdgcn_target "amdgcn-amd-amdhsa--gfx1100"
	.amdhsa_code_object_version 6
	.protected	_Z18kQuantizeBlockwiseIfLi4096ELi4ELi0ELi2EEvPfPT_S0_PhS0_ii ; -- Begin function _Z18kQuantizeBlockwiseIfLi4096ELi4ELi0ELi2EEvPfPT_S0_PhS0_ii
	.globl	_Z18kQuantizeBlockwiseIfLi4096ELi4ELi0ELi2EEvPfPT_S0_PhS0_ii
	.p2align	8
	.type	_Z18kQuantizeBlockwiseIfLi4096ELi4ELi0ELi2EEvPfPT_S0_PhS0_ii,@function
_Z18kQuantizeBlockwiseIfLi4096ELi4ELi0ELi2EEvPfPT_S0_PhS0_ii: ; @_Z18kQuantizeBlockwiseIfLi4096ELi4ELi0ELi2EEvPfPT_S0_PhS0_ii
; %bb.0:
	s_load_b32 s2, s[0:1], 0x30
	s_lshl_b32 s16, s15, 12
	s_waitcnt lgkmcnt(0)
	s_lshl_b32 s18, s2, 12
	s_delay_alu instid0(SALU_CYCLE_1)
	s_cmp_ge_i32 s16, s18
	s_cbranch_scc1 .LBB128_133
; %bb.1:
	s_load_b64 s[2:3], s[0:1], 0x8
	v_lshlrev_b32_e32 v1, 2, v0
	v_mbcnt_lo_u32_b32 v2, -1, 0
	s_clause 0x1
	s_load_b128 s[8:11], s[0:1], 0x10
	s_load_b32 s4, s[0:1], 0x2c
	v_and_b32_e32 v8, 0x3e0, v0
	v_cmp_gt_u32_e64 s1, 32, v0
	v_and_b32_e32 v1, 0xf80, v1
	v_lshlrev_b32_e32 v3, 2, v2
	v_add_nc_u32_e32 v23, 2, v2
	v_or_b32_e32 v4, v2, v8
	v_add_nc_u32_e32 v25, 4, v2
	v_or_b32_e32 v9, v2, v1
	v_lshrrev_b32_e32 v5, 5, v1
	v_lshlrev_b32_e32 v1, 2, v1
	v_add_nc_u32_e32 v27, 8, v2
	v_add_nc_u32_e32 v29, 16, v2
	v_or_b32_e32 v11, 64, v9
	v_add_lshl_u32 v13, v5, v9, 2
	v_or_b32_e32 v12, 0x60, v9
	v_or_b32_e32 v10, 32, v9
	s_waitcnt lgkmcnt(0)
	v_add_co_u32 v5, s0, s2, v3
	s_delay_alu instid0(VALU_DEP_1) | instskip(NEXT) | instid1(VALU_DEP_3)
	v_add_co_ci_u32_e64 v6, null, s3, 0, s0
	v_lshrrev_b32_e32 v7, 5, v10
	s_delay_alu instid0(VALU_DEP_3) | instskip(NEXT) | instid1(VALU_DEP_3)
	v_add_co_u32 v14, vcc_lo, v5, v1
	v_add_co_ci_u32_e32 v15, vcc_lo, 0, v6, vcc_lo
	v_cmp_gt_u32_e32 vcc_lo, 30, v2
	v_lshrrev_b32_e32 v1, 5, v11
	v_lshrrev_b32_e32 v5, 5, v12
	v_add_lshl_u32 v16, v7, v10, 2
	v_lshlrev_b32_e32 v6, 2, v4
	v_cndmask_b32_e64 v20, 0, 1, vcc_lo
	v_cmp_ne_u32_e32 vcc_lo, 31, v2
	v_add_lshl_u32 v17, v1, v11, 2
	v_add_lshl_u32 v18, v5, v12, 2
	v_bfe_u32 v7, v4, 3, 27
	v_lshlrev_b32_e32 v1, 1, v20
	v_add_co_ci_u32_e32 v21, vcc_lo, 0, v2, vcc_lo
	v_cmp_gt_u32_e32 vcc_lo, 28, v2
	s_delay_alu instid0(VALU_DEP_4) | instskip(NEXT) | instid1(VALU_DEP_4)
	v_add_lshl_u32 v19, v7, v6, 2
	v_add_lshl_u32 v22, v1, v2, 2
	s_delay_alu instid0(VALU_DEP_4)
	v_lshlrev_b32_e32 v20, 2, v21
	v_add_nc_u32_e32 v21, 1, v2
	v_cndmask_b32_e64 v5, 0, 1, vcc_lo
	v_cmp_gt_u32_e32 vcc_lo, 24, v2
	v_cmp_eq_u32_e64 s0, 0, v2
	v_add_nc_u32_e32 v32, 0x4a40, v3
	v_cmp_eq_u32_e64 s2, 0, v0
	v_lshlrev_b32_e32 v5, 2, v5
	v_cndmask_b32_e64 v1, 0, 1, vcc_lo
	v_cmp_gt_u32_e32 vcc_lo, 16, v2
	s_mov_b32 s12, 0
	s_delay_alu instid0(VALU_DEP_3) | instskip(NEXT) | instid1(VALU_DEP_3)
	v_add_lshl_u32 v24, v5, v2, 2
	v_lshlrev_b32_e32 v1, 3, v1
	v_cndmask_b32_e64 v6, 0, 1, vcc_lo
	s_delay_alu instid0(VALU_DEP_2) | instskip(SKIP_1) | instid1(VALU_DEP_3)
	v_add_lshl_u32 v26, v1, v2, 2
	v_lshlrev_b32_e32 v1, 1, v0
	v_lshlrev_b32_e32 v5, 4, v6
	v_lshrrev_b32_e32 v6, 3, v0
	s_delay_alu instid0(VALU_DEP_3) | instskip(NEXT) | instid1(VALU_DEP_3)
	v_and_b32_e32 v1, 0x7c0, v1
	v_add_lshl_u32 v28, v5, v2, 2
	s_delay_alu instid0(VALU_DEP_3) | instskip(SKIP_1) | instid1(VALU_DEP_4)
	v_and_b32_e32 v5, 0x7c, v6
	v_lshrrev_b32_e32 v6, 4, v0
	v_or_b32_e32 v31, v2, v1
	v_add_co_u32 v2, s3, s10, v2
	s_delay_alu instid0(VALU_DEP_4) | instskip(NEXT) | instid1(VALU_DEP_4)
	v_add_nc_u32_e32 v30, 0x4a40, v5
	v_and_b32_e32 v5, 60, v6
	s_delay_alu instid0(VALU_DEP_4)
	v_or_b32_e32 v34, 32, v31
	v_add_co_ci_u32_e64 v3, null, s11, 0, s3
	v_add_co_u32 v36, vcc_lo, v2, v1
	v_mov_b32_e32 v1, 0
	v_lshl_add_u32 v0, v4, 1, v5
	v_add_nc_u32_e32 v33, v5, v31
	v_add_nc_u32_e32 v35, v5, v34
	v_add_co_ci_u32_e32 v37, vcc_lo, 0, v3, vcc_lo
	s_sub_i32 s10, s4, s16
	s_branch .LBB128_3
.LBB128_2:                              ;   in Loop: Header=BB128_3 Depth=1
	s_or_b32 exec_lo, exec_lo, s3
	s_add_i32 s16, s16, s18
	s_sub_i32 s10, s10, s18
	s_cmp_ge_i32 s16, s18
	s_cbranch_scc1 .LBB128_133
.LBB128_3:                              ; =>This Inner Loop Header: Depth=1
	s_ashr_i32 s17, s16, 31
	s_mov_b32 s13, s12
	s_lshl_b64 s[4:5], s[16:17], 2
	s_mov_b32 s14, s12
	v_add_co_u32 v6, vcc_lo, v14, s4
	s_mov_b32 s15, s12
	s_waitcnt lgkmcnt(0)
	v_dual_mov_b32 v2, s12 :: v_dual_mov_b32 v3, s13
	v_add_co_ci_u32_e32 v7, vcc_lo, s5, v15, vcc_lo
	v_dual_mov_b32 v4, s14 :: v_dual_mov_b32 v5, s15
	v_mov_b32_e32 v38, 0
	s_min_i32 s11, s10, 0x1000
	s_mov_b32 s3, exec_lo
	s_waitcnt_vscnt null, 0x0
	s_barrier
	buffer_gl0_inv
	v_cmpx_gt_u32_e64 s11, v9
	s_cbranch_execnz .LBB128_130
; %bb.4:                                ;   in Loop: Header=BB128_3 Depth=1
	s_or_b32 exec_lo, exec_lo, s3
	s_delay_alu instid0(SALU_CYCLE_1)
	s_mov_b32 s3, exec_lo
	v_cmpx_gt_u32_e64 s11, v10
	s_cbranch_execnz .LBB128_131
.LBB128_5:                              ;   in Loop: Header=BB128_3 Depth=1
	s_or_b32 exec_lo, exec_lo, s3
	s_delay_alu instid0(SALU_CYCLE_1)
	s_mov_b32 s3, exec_lo
	v_cmpx_gt_u32_e64 s11, v11
	s_cbranch_execnz .LBB128_132
.LBB128_6:                              ;   in Loop: Header=BB128_3 Depth=1
	s_or_b32 exec_lo, exec_lo, s3
	s_delay_alu instid0(SALU_CYCLE_1)
	s_mov_b32 s3, exec_lo
	v_cmpx_gt_u32_e64 s11, v12
	s_cbranch_execz .LBB128_8
.LBB128_7:                              ;   in Loop: Header=BB128_3 Depth=1
	global_load_b32 v5, v[6:7], off offset:384
.LBB128_8:                              ;   in Loop: Header=BB128_3 Depth=1
	s_or_b32 exec_lo, exec_lo, s3
	s_waitcnt vmcnt(0)
	ds_store_b32 v13, v38
	ds_store_b32 v16, v3
	ds_store_b32 v17, v4
	ds_store_b32 v18, v5
	; wave barrier
	ds_load_2addr_b32 v[4:5], v19 offset1:1
	ds_load_2addr_b32 v[2:3], v19 offset0:2 offset1:3
	v_sub_nc_u32_e64 v38, s11, v8 clamp
	s_delay_alu instid0(VALU_DEP_1) | instskip(SKIP_3) | instid1(VALU_DEP_1)
	v_cmp_lt_u32_e64 s6, v29, v38
	s_waitcnt lgkmcnt(1)
	v_max3_f32 v6, |v4|, 0xff7fffff, |v5|
	s_waitcnt lgkmcnt(0)
	v_max3_f32 v6, v6, |v2|, |v3|
	ds_bpermute_b32 v7, v20, v6
	s_waitcnt lgkmcnt(0)
	v_cmp_lt_f32_e32 vcc_lo, v6, v7
	v_cndmask_b32_e32 v7, v6, v7, vcc_lo
	v_cmp_lt_u32_e32 vcc_lo, v21, v38
	s_delay_alu instid0(VALU_DEP_2) | instskip(SKIP_3) | instid1(VALU_DEP_1)
	v_cndmask_b32_e32 v7, v6, v7, vcc_lo
	ds_bpermute_b32 v39, v22, v7
	s_waitcnt lgkmcnt(0)
	v_cmp_lt_f32_e64 s3, v7, v39
	v_cndmask_b32_e64 v39, v7, v39, s3
	v_cmp_lt_u32_e64 s3, v23, v38
	s_delay_alu instid0(VALU_DEP_1) | instskip(SKIP_4) | instid1(VALU_DEP_1)
	v_cndmask_b32_e64 v7, v7, v39, s3
	s_or_b32 s3, vcc_lo, s3
	ds_bpermute_b32 v39, v24, v7
	s_waitcnt lgkmcnt(0)
	v_cmp_lt_f32_e64 s4, v7, v39
	v_cndmask_b32_e64 v39, v7, v39, s4
	v_cmp_lt_u32_e64 s4, v25, v38
	s_delay_alu instid0(VALU_DEP_1) | instskip(SKIP_4) | instid1(VALU_DEP_1)
	v_cndmask_b32_e64 v7, v7, v39, s4
	s_or_b32 s3, s4, s3
	ds_bpermute_b32 v39, v26, v7
	s_waitcnt lgkmcnt(0)
	v_cmp_lt_f32_e64 s5, v7, v39
	v_cndmask_b32_e64 v39, v7, v39, s5
	v_cmp_lt_u32_e64 s5, v27, v38
	s_delay_alu instid0(VALU_DEP_1) | instskip(SKIP_4) | instid1(VALU_DEP_1)
	v_cndmask_b32_e64 v7, v7, v39, s5
	s_or_b32 s3, s5, s3
	ds_bpermute_b32 v39, v28, v7
	s_waitcnt lgkmcnt(0)
	v_cmp_lt_f32_e64 s7, v7, v39
	s_and_b32 vcc_lo, s6, s7
	v_cndmask_b32_e32 v7, v7, v39, vcc_lo
	s_or_b32 vcc_lo, s6, s3
	s_delay_alu instid0(VALU_DEP_1)
	v_cndmask_b32_e32 v6, v6, v7, vcc_lo
	s_and_saveexec_b32 s3, s0
	s_cbranch_execz .LBB128_10
; %bb.9:                                ;   in Loop: Header=BB128_3 Depth=1
	ds_store_b32 v30, v6
.LBB128_10:                             ;   in Loop: Header=BB128_3 Depth=1
	s_or_b32 exec_lo, exec_lo, s3
	s_waitcnt lgkmcnt(0)
	s_barrier
	buffer_gl0_inv
	s_and_saveexec_b32 s13, s1
	s_cbranch_execz .LBB128_12
; %bb.11:                               ;   in Loop: Header=BB128_3 Depth=1
	ds_load_b32 v6, v32
	s_add_i32 s3, s11, 31
	s_delay_alu instid0(SALU_CYCLE_1)
	s_lshr_b32 s6, s3, 5
	s_waitcnt lgkmcnt(0)
	ds_bpermute_b32 v7, v20, v6
	s_waitcnt lgkmcnt(0)
	v_cmp_lt_f32_e32 vcc_lo, v6, v7
	v_cndmask_b32_e32 v7, v6, v7, vcc_lo
	v_cmp_gt_u32_e32 vcc_lo, s6, v21
	s_delay_alu instid0(VALU_DEP_2) | instskip(SKIP_3) | instid1(VALU_DEP_1)
	v_cndmask_b32_e32 v7, v6, v7, vcc_lo
	ds_bpermute_b32 v38, v22, v7
	s_waitcnt lgkmcnt(0)
	v_cmp_lt_f32_e64 s3, v7, v38
	v_cndmask_b32_e64 v38, v7, v38, s3
	v_cmp_gt_u32_e64 s3, s6, v23
	s_delay_alu instid0(VALU_DEP_1) | instskip(SKIP_4) | instid1(VALU_DEP_1)
	v_cndmask_b32_e64 v7, v7, v38, s3
	s_or_b32 s3, vcc_lo, s3
	ds_bpermute_b32 v38, v24, v7
	s_waitcnt lgkmcnt(0)
	v_cmp_lt_f32_e64 s4, v7, v38
	v_cndmask_b32_e64 v38, v7, v38, s4
	v_cmp_gt_u32_e64 s4, s6, v25
	s_delay_alu instid0(VALU_DEP_1) | instskip(SKIP_4) | instid1(VALU_DEP_1)
	v_cndmask_b32_e64 v7, v7, v38, s4
	s_or_b32 s3, s4, s3
	ds_bpermute_b32 v38, v26, v7
	s_waitcnt lgkmcnt(0)
	v_cmp_lt_f32_e64 s5, v7, v38
	v_cndmask_b32_e64 v38, v7, v38, s5
	v_cmp_gt_u32_e64 s5, s6, v27
	v_cmp_gt_u32_e64 s6, s6, v29
	s_delay_alu instid0(VALU_DEP_2) | instskip(SKIP_4) | instid1(VALU_DEP_1)
	v_cndmask_b32_e64 v7, v7, v38, s5
	s_or_b32 s3, s5, s3
	ds_bpermute_b32 v38, v28, v7
	s_waitcnt lgkmcnt(0)
	v_cmp_lt_f32_e64 s7, v7, v38
	s_and_b32 vcc_lo, s6, s7
	v_cndmask_b32_e32 v7, v7, v38, vcc_lo
	s_or_b32 vcc_lo, s6, s3
	s_delay_alu instid0(VALU_DEP_1)
	v_cndmask_b32_e32 v6, v6, v7, vcc_lo
.LBB128_12:                             ;   in Loop: Header=BB128_3 Depth=1
	s_or_b32 exec_lo, exec_lo, s13
	s_and_saveexec_b32 s3, s2
	s_cbranch_execz .LBB128_14
; %bb.13:                               ;   in Loop: Header=BB128_3 Depth=1
	s_delay_alu instid0(VALU_DEP_1) | instskip(SKIP_2) | instid1(VALU_DEP_2)
	v_div_scale_f32 v7, null, v6, v6, 1.0
	v_div_scale_f32 v40, vcc_lo, 1.0, v6, 1.0
	s_ashr_i32 s4, s16, 12
	v_rcp_f32_e32 v38, v7
	s_ashr_i32 s5, s4, 31
	s_delay_alu instid0(SALU_CYCLE_1) | instskip(NEXT) | instid1(SALU_CYCLE_1)
	s_lshl_b64 s[4:5], s[4:5], 2
	s_add_u32 s4, s8, s4
	s_addc_u32 s5, s9, s5
	global_store_b32 v1, v6, s[4:5]
	v_fma_f32 v39, -v7, v38, 1.0
	s_delay_alu instid0(VALU_DEP_1) | instskip(NEXT) | instid1(VALU_DEP_1)
	v_fmac_f32_e32 v38, v39, v38
	v_mul_f32_e32 v39, v40, v38
	s_delay_alu instid0(VALU_DEP_1) | instskip(NEXT) | instid1(VALU_DEP_1)
	v_fma_f32 v41, -v7, v39, v40
	v_fmac_f32_e32 v39, v41, v38
	s_delay_alu instid0(VALU_DEP_1) | instskip(NEXT) | instid1(VALU_DEP_1)
	v_fma_f32 v7, -v7, v39, v40
	v_div_fmas_f32 v7, v7, v38, v39
	s_delay_alu instid0(VALU_DEP_1)
	v_div_fixup_f32 v7, v7, v6, 1.0
	ds_store_b32 v1, v7 offset:19136
.LBB128_14:                             ;   in Loop: Header=BB128_3 Depth=1
	s_or_b32 exec_lo, exec_lo, s3
	s_waitcnt lgkmcnt(0)
	s_waitcnt_vscnt null, 0x0
	s_barrier
	buffer_gl0_inv
	ds_load_b32 v6, v1 offset:19136
	s_mov_b32 s3, exec_lo
	s_waitcnt lgkmcnt(0)
	v_mul_f32_e32 v7, v6, v4
                                        ; implicit-def: $vgpr4
	s_delay_alu instid0(VALU_DEP_1)
	v_cmpx_nlt_f32_e32 0x3d22faff, v7
	s_xor_b32 s3, exec_lo, s3
	s_cbranch_execz .LBB128_28
; %bb.15:                               ;   in Loop: Header=BB128_3 Depth=1
	s_mov_b32 s4, exec_lo
                                        ; implicit-def: $vgpr4
	v_cmpx_nlt_f32_e32 0xbeadea76, v7
	s_xor_b32 s4, exec_lo, s4
	s_cbranch_execz .LBB128_21
; %bb.16:                               ;   in Loop: Header=BB128_3 Depth=1
	s_mov_b32 s5, exec_lo
                                        ; implicit-def: $vgpr4
	v_cmpx_nlt_f32_e32 0xbf1c5270, v7
	s_xor_b32 s5, exec_lo, s5
; %bb.17:                               ;   in Loop: Header=BB128_3 Depth=1
	v_cmp_lt_f32_e32 vcc_lo, 0xbf591cd9, v7
                                        ; implicit-def: $vgpr7
	v_cndmask_b32_e64 v4, 0, 1, vcc_lo
; %bb.18:                               ;   in Loop: Header=BB128_3 Depth=1
	s_and_not1_saveexec_b32 s5, s5
; %bb.19:                               ;   in Loop: Header=BB128_3 Depth=1
	v_cmp_lt_f32_e32 vcc_lo, 0xbeeb8480, v7
	v_cndmask_b32_e64 v4, 2, 3, vcc_lo
; %bb.20:                               ;   in Loop: Header=BB128_3 Depth=1
	s_or_b32 exec_lo, exec_lo, s5
                                        ; implicit-def: $vgpr7
.LBB128_21:                             ;   in Loop: Header=BB128_3 Depth=1
	s_and_not1_saveexec_b32 s4, s4
	s_cbranch_execz .LBB128_27
; %bb.22:                               ;   in Loop: Header=BB128_3 Depth=1
	s_mov_b32 s5, exec_lo
                                        ; implicit-def: $vgpr4
	v_cmpx_nlt_f32_e32 0xbe0d38bc, v7
	s_xor_b32 s5, exec_lo, s5
; %bb.23:                               ;   in Loop: Header=BB128_3 Depth=1
	v_cmp_lt_f32_e32 vcc_lo, 0xbe703cec, v7
                                        ; implicit-def: $vgpr7
	v_cndmask_b32_e64 v4, 4, 5, vcc_lo
; %bb.24:                               ;   in Loop: Header=BB128_3 Depth=1
	s_and_not1_saveexec_b32 s5, s5
; %bb.25:                               ;   in Loop: Header=BB128_3 Depth=1
	v_cmp_lt_f32_e32 vcc_lo, 0xbd3a7871, v7
	v_cndmask_b32_e64 v4, 6, 7, vcc_lo
; %bb.26:                               ;   in Loop: Header=BB128_3 Depth=1
	s_or_b32 exec_lo, exec_lo, s5
.LBB128_27:                             ;   in Loop: Header=BB128_3 Depth=1
	s_delay_alu instid0(SALU_CYCLE_1)
	s_or_b32 exec_lo, exec_lo, s4
                                        ; implicit-def: $vgpr7
.LBB128_28:                             ;   in Loop: Header=BB128_3 Depth=1
	s_and_not1_saveexec_b32 s3, s3
	s_cbranch_execz .LBB128_42
; %bb.29:                               ;   in Loop: Header=BB128_3 Depth=1
	s_mov_b32 s4, exec_lo
                                        ; implicit-def: $vgpr4
	v_cmpx_nlt_f32_e32 0x3ec753f9, v7
	s_xor_b32 s4, exec_lo, s4
	s_cbranch_execz .LBB128_35
; %bb.30:                               ;   in Loop: Header=BB128_3 Depth=1
	s_mov_b32 s5, exec_lo
                                        ; implicit-def: $vgpr4
	v_cmpx_nlt_f32_e32 0x3e5067e0, v7
	s_xor_b32 s5, exec_lo, s5
; %bb.31:                               ;   in Loop: Header=BB128_3 Depth=1
	v_cmp_lt_f32_e32 vcc_lo, 0x3df64863, v7
                                        ; implicit-def: $vgpr7
	v_cndmask_b32_e64 v4, 8, 9, vcc_lo
; %bb.32:                               ;   in Loop: Header=BB128_3 Depth=1
	s_and_not1_saveexec_b32 s5, s5
; %bb.33:                               ;   in Loop: Header=BB128_3 Depth=1
	v_cmp_lt_f32_e32 vcc_lo, 0x3e9582d4, v7
	v_cndmask_b32_e64 v4, 10, 11, vcc_lo
; %bb.34:                               ;   in Loop: Header=BB128_3 Depth=1
	s_or_b32 exec_lo, exec_lo, s5
                                        ; implicit-def: $vgpr7
.LBB128_35:                             ;   in Loop: Header=BB128_3 Depth=1
	s_and_not1_saveexec_b32 s4, s4
	s_cbranch_execz .LBB128_41
; %bb.36:                               ;   in Loop: Header=BB128_3 Depth=1
	s_mov_b32 s5, exec_lo
                                        ; implicit-def: $vgpr4
	v_cmpx_nlt_f32_e32 0x3f248daf, v7
	s_xor_b32 s5, exec_lo, s5
; %bb.37:                               ;   in Loop: Header=BB128_3 Depth=1
	v_cmp_lt_f32_e32 vcc_lo, 0x3f006d03, v7
                                        ; implicit-def: $vgpr7
	v_cndmask_b32_e64 v4, 12, 13, vcc_lo
; %bb.38:                               ;   in Loop: Header=BB128_3 Depth=1
	s_and_not1_saveexec_b32 s5, s5
; %bb.39:                               ;   in Loop: Header=BB128_3 Depth=1
	v_cmp_lt_f32_e32 vcc_lo, 0x3f5c89d9, v7
	v_cndmask_b32_e64 v4, 14, 15, vcc_lo
; %bb.40:                               ;   in Loop: Header=BB128_3 Depth=1
	s_or_b32 exec_lo, exec_lo, s5
.LBB128_41:                             ;   in Loop: Header=BB128_3 Depth=1
	s_delay_alu instid0(SALU_CYCLE_1)
	s_or_b32 exec_lo, exec_lo, s4
.LBB128_42:                             ;   in Loop: Header=BB128_3 Depth=1
	s_delay_alu instid0(SALU_CYCLE_1) | instskip(SKIP_2) | instid1(VALU_DEP_1)
	s_or_b32 exec_lo, exec_lo, s3
	v_mul_f32_e32 v7, v6, v5
	s_mov_b32 s3, exec_lo
                                        ; implicit-def: $vgpr5
	v_cmpx_nlt_f32_e32 0x3d22faff, v7
	s_xor_b32 s3, exec_lo, s3
	s_cbranch_execz .LBB128_56
; %bb.43:                               ;   in Loop: Header=BB128_3 Depth=1
	s_mov_b32 s4, exec_lo
                                        ; implicit-def: $vgpr5
	v_cmpx_nlt_f32_e32 0xbeadea76, v7
	s_xor_b32 s4, exec_lo, s4
	s_cbranch_execz .LBB128_49
; %bb.44:                               ;   in Loop: Header=BB128_3 Depth=1
	s_mov_b32 s5, exec_lo
                                        ; implicit-def: $vgpr5
	v_cmpx_nlt_f32_e32 0xbf1c5270, v7
	s_xor_b32 s5, exec_lo, s5
; %bb.45:                               ;   in Loop: Header=BB128_3 Depth=1
	v_cmp_lt_f32_e32 vcc_lo, 0xbf591cd9, v7
                                        ; implicit-def: $vgpr7
	v_cndmask_b32_e64 v5, 0, 1, vcc_lo
; %bb.46:                               ;   in Loop: Header=BB128_3 Depth=1
	s_and_not1_saveexec_b32 s5, s5
; %bb.47:                               ;   in Loop: Header=BB128_3 Depth=1
	v_cmp_lt_f32_e32 vcc_lo, 0xbeeb8480, v7
	v_cndmask_b32_e64 v5, 2, 3, vcc_lo
; %bb.48:                               ;   in Loop: Header=BB128_3 Depth=1
	s_or_b32 exec_lo, exec_lo, s5
                                        ; implicit-def: $vgpr7
.LBB128_49:                             ;   in Loop: Header=BB128_3 Depth=1
	s_and_not1_saveexec_b32 s4, s4
	s_cbranch_execz .LBB128_55
; %bb.50:                               ;   in Loop: Header=BB128_3 Depth=1
	s_mov_b32 s5, exec_lo
                                        ; implicit-def: $vgpr5
	v_cmpx_nlt_f32_e32 0xbe0d38bc, v7
	s_xor_b32 s5, exec_lo, s5
; %bb.51:                               ;   in Loop: Header=BB128_3 Depth=1
	v_cmp_lt_f32_e32 vcc_lo, 0xbe703cec, v7
                                        ; implicit-def: $vgpr7
	v_cndmask_b32_e64 v5, 4, 5, vcc_lo
; %bb.52:                               ;   in Loop: Header=BB128_3 Depth=1
	s_and_not1_saveexec_b32 s5, s5
; %bb.53:                               ;   in Loop: Header=BB128_3 Depth=1
	v_cmp_lt_f32_e32 vcc_lo, 0xbd3a7871, v7
	v_cndmask_b32_e64 v5, 6, 7, vcc_lo
; %bb.54:                               ;   in Loop: Header=BB128_3 Depth=1
	s_or_b32 exec_lo, exec_lo, s5
.LBB128_55:                             ;   in Loop: Header=BB128_3 Depth=1
	s_delay_alu instid0(SALU_CYCLE_1)
	s_or_b32 exec_lo, exec_lo, s4
                                        ; implicit-def: $vgpr7
.LBB128_56:                             ;   in Loop: Header=BB128_3 Depth=1
	s_and_not1_saveexec_b32 s3, s3
	s_cbranch_execz .LBB128_70
; %bb.57:                               ;   in Loop: Header=BB128_3 Depth=1
	s_mov_b32 s4, exec_lo
                                        ; implicit-def: $vgpr5
	v_cmpx_nlt_f32_e32 0x3ec753f9, v7
	s_xor_b32 s4, exec_lo, s4
	s_cbranch_execz .LBB128_63
; %bb.58:                               ;   in Loop: Header=BB128_3 Depth=1
	s_mov_b32 s5, exec_lo
                                        ; implicit-def: $vgpr5
	v_cmpx_nlt_f32_e32 0x3e5067e0, v7
	s_xor_b32 s5, exec_lo, s5
; %bb.59:                               ;   in Loop: Header=BB128_3 Depth=1
	v_cmp_lt_f32_e32 vcc_lo, 0x3df64863, v7
                                        ; implicit-def: $vgpr7
	v_cndmask_b32_e64 v5, 8, 9, vcc_lo
; %bb.60:                               ;   in Loop: Header=BB128_3 Depth=1
	s_and_not1_saveexec_b32 s5, s5
; %bb.61:                               ;   in Loop: Header=BB128_3 Depth=1
	v_cmp_lt_f32_e32 vcc_lo, 0x3e9582d4, v7
	v_cndmask_b32_e64 v5, 10, 11, vcc_lo
; %bb.62:                               ;   in Loop: Header=BB128_3 Depth=1
	s_or_b32 exec_lo, exec_lo, s5
                                        ; implicit-def: $vgpr7
.LBB128_63:                             ;   in Loop: Header=BB128_3 Depth=1
	s_and_not1_saveexec_b32 s4, s4
	s_cbranch_execz .LBB128_69
; %bb.64:                               ;   in Loop: Header=BB128_3 Depth=1
	s_mov_b32 s5, exec_lo
                                        ; implicit-def: $vgpr5
	v_cmpx_nlt_f32_e32 0x3f248daf, v7
	s_xor_b32 s5, exec_lo, s5
; %bb.65:                               ;   in Loop: Header=BB128_3 Depth=1
	v_cmp_lt_f32_e32 vcc_lo, 0x3f006d03, v7
                                        ; implicit-def: $vgpr7
	v_cndmask_b32_e64 v5, 12, 13, vcc_lo
; %bb.66:                               ;   in Loop: Header=BB128_3 Depth=1
	s_and_not1_saveexec_b32 s5, s5
; %bb.67:                               ;   in Loop: Header=BB128_3 Depth=1
	v_cmp_lt_f32_e32 vcc_lo, 0x3f5c89d9, v7
	v_cndmask_b32_e64 v5, 14, 15, vcc_lo
; %bb.68:                               ;   in Loop: Header=BB128_3 Depth=1
	s_or_b32 exec_lo, exec_lo, s5
.LBB128_69:                             ;   in Loop: Header=BB128_3 Depth=1
	s_delay_alu instid0(SALU_CYCLE_1)
	s_or_b32 exec_lo, exec_lo, s4
.LBB128_70:                             ;   in Loop: Header=BB128_3 Depth=1
	s_delay_alu instid0(SALU_CYCLE_1) | instskip(SKIP_2) | instid1(VALU_DEP_1)
	s_or_b32 exec_lo, exec_lo, s3
	v_mul_f32_e32 v7, v6, v2
	s_mov_b32 s3, exec_lo
                                        ; implicit-def: $vgpr2
	v_cmpx_nlt_f32_e32 0x3d22faff, v7
	s_xor_b32 s3, exec_lo, s3
	s_cbranch_execz .LBB128_84
; %bb.71:                               ;   in Loop: Header=BB128_3 Depth=1
	s_mov_b32 s4, exec_lo
                                        ; implicit-def: $vgpr2
	v_cmpx_nlt_f32_e32 0xbeadea76, v7
	s_xor_b32 s4, exec_lo, s4
	s_cbranch_execz .LBB128_77
; %bb.72:                               ;   in Loop: Header=BB128_3 Depth=1
	s_mov_b32 s5, exec_lo
                                        ; implicit-def: $vgpr2
	v_cmpx_nlt_f32_e32 0xbf1c5270, v7
	s_xor_b32 s5, exec_lo, s5
; %bb.73:                               ;   in Loop: Header=BB128_3 Depth=1
	v_cmp_lt_f32_e32 vcc_lo, 0xbf591cd9, v7
                                        ; implicit-def: $vgpr7
	v_cndmask_b32_e64 v2, 0, 1, vcc_lo
; %bb.74:                               ;   in Loop: Header=BB128_3 Depth=1
	s_and_not1_saveexec_b32 s5, s5
; %bb.75:                               ;   in Loop: Header=BB128_3 Depth=1
	v_cmp_lt_f32_e32 vcc_lo, 0xbeeb8480, v7
	v_cndmask_b32_e64 v2, 2, 3, vcc_lo
; %bb.76:                               ;   in Loop: Header=BB128_3 Depth=1
	s_or_b32 exec_lo, exec_lo, s5
                                        ; implicit-def: $vgpr7
.LBB128_77:                             ;   in Loop: Header=BB128_3 Depth=1
	s_and_not1_saveexec_b32 s4, s4
	s_cbranch_execz .LBB128_83
; %bb.78:                               ;   in Loop: Header=BB128_3 Depth=1
	s_mov_b32 s5, exec_lo
                                        ; implicit-def: $vgpr2
	v_cmpx_nlt_f32_e32 0xbe0d38bc, v7
	s_xor_b32 s5, exec_lo, s5
; %bb.79:                               ;   in Loop: Header=BB128_3 Depth=1
	v_cmp_lt_f32_e32 vcc_lo, 0xbe703cec, v7
                                        ; implicit-def: $vgpr7
	v_cndmask_b32_e64 v2, 4, 5, vcc_lo
; %bb.80:                               ;   in Loop: Header=BB128_3 Depth=1
	s_and_not1_saveexec_b32 s5, s5
; %bb.81:                               ;   in Loop: Header=BB128_3 Depth=1
	v_cmp_lt_f32_e32 vcc_lo, 0xbd3a7871, v7
	v_cndmask_b32_e64 v2, 6, 7, vcc_lo
; %bb.82:                               ;   in Loop: Header=BB128_3 Depth=1
	s_or_b32 exec_lo, exec_lo, s5
.LBB128_83:                             ;   in Loop: Header=BB128_3 Depth=1
	s_delay_alu instid0(SALU_CYCLE_1)
	s_or_b32 exec_lo, exec_lo, s4
                                        ; implicit-def: $vgpr7
.LBB128_84:                             ;   in Loop: Header=BB128_3 Depth=1
	s_and_not1_saveexec_b32 s3, s3
	s_cbranch_execz .LBB128_98
; %bb.85:                               ;   in Loop: Header=BB128_3 Depth=1
	s_mov_b32 s4, exec_lo
                                        ; implicit-def: $vgpr2
	v_cmpx_nlt_f32_e32 0x3ec753f9, v7
	s_xor_b32 s4, exec_lo, s4
	s_cbranch_execz .LBB128_91
; %bb.86:                               ;   in Loop: Header=BB128_3 Depth=1
	s_mov_b32 s5, exec_lo
                                        ; implicit-def: $vgpr2
	v_cmpx_nlt_f32_e32 0x3e5067e0, v7
	s_xor_b32 s5, exec_lo, s5
; %bb.87:                               ;   in Loop: Header=BB128_3 Depth=1
	v_cmp_lt_f32_e32 vcc_lo, 0x3df64863, v7
                                        ; implicit-def: $vgpr7
	v_cndmask_b32_e64 v2, 8, 9, vcc_lo
; %bb.88:                               ;   in Loop: Header=BB128_3 Depth=1
	s_and_not1_saveexec_b32 s5, s5
; %bb.89:                               ;   in Loop: Header=BB128_3 Depth=1
	v_cmp_lt_f32_e32 vcc_lo, 0x3e9582d4, v7
	v_cndmask_b32_e64 v2, 10, 11, vcc_lo
; %bb.90:                               ;   in Loop: Header=BB128_3 Depth=1
	s_or_b32 exec_lo, exec_lo, s5
                                        ; implicit-def: $vgpr7
.LBB128_91:                             ;   in Loop: Header=BB128_3 Depth=1
	s_and_not1_saveexec_b32 s4, s4
	s_cbranch_execz .LBB128_97
; %bb.92:                               ;   in Loop: Header=BB128_3 Depth=1
	s_mov_b32 s5, exec_lo
                                        ; implicit-def: $vgpr2
	v_cmpx_nlt_f32_e32 0x3f248daf, v7
	s_xor_b32 s5, exec_lo, s5
; %bb.93:                               ;   in Loop: Header=BB128_3 Depth=1
	v_cmp_lt_f32_e32 vcc_lo, 0x3f006d03, v7
                                        ; implicit-def: $vgpr7
	v_cndmask_b32_e64 v2, 12, 13, vcc_lo
; %bb.94:                               ;   in Loop: Header=BB128_3 Depth=1
	s_and_not1_saveexec_b32 s5, s5
; %bb.95:                               ;   in Loop: Header=BB128_3 Depth=1
	v_cmp_lt_f32_e32 vcc_lo, 0x3f5c89d9, v7
	v_cndmask_b32_e64 v2, 14, 15, vcc_lo
; %bb.96:                               ;   in Loop: Header=BB128_3 Depth=1
	s_or_b32 exec_lo, exec_lo, s5
.LBB128_97:                             ;   in Loop: Header=BB128_3 Depth=1
	s_delay_alu instid0(SALU_CYCLE_1)
	s_or_b32 exec_lo, exec_lo, s4
.LBB128_98:                             ;   in Loop: Header=BB128_3 Depth=1
	s_delay_alu instid0(SALU_CYCLE_1) | instskip(SKIP_2) | instid1(VALU_DEP_1)
	s_or_b32 exec_lo, exec_lo, s3
	v_mul_f32_e32 v6, v6, v3
	s_mov_b32 s3, exec_lo
                                        ; implicit-def: $vgpr3
	v_cmpx_nlt_f32_e32 0x3d22faff, v6
	s_xor_b32 s3, exec_lo, s3
	s_cbranch_execz .LBB128_112
; %bb.99:                               ;   in Loop: Header=BB128_3 Depth=1
	s_mov_b32 s4, exec_lo
                                        ; implicit-def: $vgpr3
	v_cmpx_nlt_f32_e32 0xbeadea76, v6
	s_xor_b32 s4, exec_lo, s4
	s_cbranch_execz .LBB128_105
; %bb.100:                              ;   in Loop: Header=BB128_3 Depth=1
	s_mov_b32 s5, exec_lo
                                        ; implicit-def: $vgpr3
	v_cmpx_nlt_f32_e32 0xbf1c5270, v6
	s_xor_b32 s5, exec_lo, s5
; %bb.101:                              ;   in Loop: Header=BB128_3 Depth=1
	v_cmp_lt_f32_e32 vcc_lo, 0xbf591cd9, v6
                                        ; implicit-def: $vgpr6
	v_cndmask_b32_e64 v3, 0, 1, vcc_lo
; %bb.102:                              ;   in Loop: Header=BB128_3 Depth=1
	s_and_not1_saveexec_b32 s5, s5
; %bb.103:                              ;   in Loop: Header=BB128_3 Depth=1
	v_cmp_lt_f32_e32 vcc_lo, 0xbeeb8480, v6
	v_cndmask_b32_e64 v3, 2, 3, vcc_lo
; %bb.104:                              ;   in Loop: Header=BB128_3 Depth=1
	s_or_b32 exec_lo, exec_lo, s5
                                        ; implicit-def: $vgpr6
.LBB128_105:                            ;   in Loop: Header=BB128_3 Depth=1
	s_and_not1_saveexec_b32 s4, s4
	s_cbranch_execz .LBB128_111
; %bb.106:                              ;   in Loop: Header=BB128_3 Depth=1
	s_mov_b32 s5, exec_lo
                                        ; implicit-def: $vgpr3
	v_cmpx_nlt_f32_e32 0xbe0d38bc, v6
	s_xor_b32 s5, exec_lo, s5
; %bb.107:                              ;   in Loop: Header=BB128_3 Depth=1
	v_cmp_lt_f32_e32 vcc_lo, 0xbe703cec, v6
                                        ; implicit-def: $vgpr6
	v_cndmask_b32_e64 v3, 4, 5, vcc_lo
; %bb.108:                              ;   in Loop: Header=BB128_3 Depth=1
	s_and_not1_saveexec_b32 s5, s5
; %bb.109:                              ;   in Loop: Header=BB128_3 Depth=1
	v_cmp_lt_f32_e32 vcc_lo, 0xbd3a7871, v6
	v_cndmask_b32_e64 v3, 6, 7, vcc_lo
; %bb.110:                              ;   in Loop: Header=BB128_3 Depth=1
	s_or_b32 exec_lo, exec_lo, s5
.LBB128_111:                            ;   in Loop: Header=BB128_3 Depth=1
	s_delay_alu instid0(SALU_CYCLE_1)
	s_or_b32 exec_lo, exec_lo, s4
                                        ; implicit-def: $vgpr6
.LBB128_112:                            ;   in Loop: Header=BB128_3 Depth=1
	s_and_not1_saveexec_b32 s3, s3
	s_cbranch_execz .LBB128_126
; %bb.113:                              ;   in Loop: Header=BB128_3 Depth=1
	s_mov_b32 s4, exec_lo
                                        ; implicit-def: $vgpr3
	v_cmpx_nlt_f32_e32 0x3ec753f9, v6
	s_xor_b32 s4, exec_lo, s4
	s_cbranch_execz .LBB128_119
; %bb.114:                              ;   in Loop: Header=BB128_3 Depth=1
	s_mov_b32 s5, exec_lo
                                        ; implicit-def: $vgpr3
	v_cmpx_nlt_f32_e32 0x3e5067e0, v6
	s_xor_b32 s5, exec_lo, s5
; %bb.115:                              ;   in Loop: Header=BB128_3 Depth=1
	v_cmp_lt_f32_e32 vcc_lo, 0x3df64863, v6
                                        ; implicit-def: $vgpr6
	v_cndmask_b32_e64 v3, 8, 9, vcc_lo
; %bb.116:                              ;   in Loop: Header=BB128_3 Depth=1
	s_and_not1_saveexec_b32 s5, s5
; %bb.117:                              ;   in Loop: Header=BB128_3 Depth=1
	v_cmp_lt_f32_e32 vcc_lo, 0x3e9582d4, v6
	v_cndmask_b32_e64 v3, 10, 11, vcc_lo
; %bb.118:                              ;   in Loop: Header=BB128_3 Depth=1
	s_or_b32 exec_lo, exec_lo, s5
                                        ; implicit-def: $vgpr6
.LBB128_119:                            ;   in Loop: Header=BB128_3 Depth=1
	s_and_not1_saveexec_b32 s4, s4
	s_cbranch_execz .LBB128_125
; %bb.120:                              ;   in Loop: Header=BB128_3 Depth=1
	s_mov_b32 s5, exec_lo
                                        ; implicit-def: $vgpr3
	v_cmpx_nlt_f32_e32 0x3f248daf, v6
	s_xor_b32 s5, exec_lo, s5
; %bb.121:                              ;   in Loop: Header=BB128_3 Depth=1
	v_cmp_lt_f32_e32 vcc_lo, 0x3f006d03, v6
                                        ; implicit-def: $vgpr6
	v_cndmask_b32_e64 v3, 12, 13, vcc_lo
; %bb.122:                              ;   in Loop: Header=BB128_3 Depth=1
	s_and_not1_saveexec_b32 s5, s5
; %bb.123:                              ;   in Loop: Header=BB128_3 Depth=1
	v_cmp_lt_f32_e32 vcc_lo, 0x3f5c89d9, v6
	v_cndmask_b32_e64 v3, 14, 15, vcc_lo
; %bb.124:                              ;   in Loop: Header=BB128_3 Depth=1
	s_or_b32 exec_lo, exec_lo, s5
.LBB128_125:                            ;   in Loop: Header=BB128_3 Depth=1
	s_delay_alu instid0(SALU_CYCLE_1)
	s_or_b32 exec_lo, exec_lo, s4
.LBB128_126:                            ;   in Loop: Header=BB128_3 Depth=1
	s_delay_alu instid0(SALU_CYCLE_1)
	s_or_b32 exec_lo, exec_lo, s3
	v_lshlrev_b16 v4, 4, v4
	v_lshlrev_b16 v2, 4, v2
	s_barrier
	buffer_gl0_inv
	v_or_b32_e32 v4, v5, v4
	v_or_b32_e32 v2, v3, v2
	s_add_i32 s3, s11, 1
	s_ashr_i32 s5, s16, 1
	s_lshr_b32 s4, s3, 31
	ds_store_b8 v0, v4 offset:16896
	ds_store_b8 v0, v2 offset:16897
	; wave barrier
	ds_load_u8 v4, v35 offset:16896
	s_add_i32 s3, s3, s4
	s_ashr_i32 s4, s5, 31
	v_add_co_u32 v2, vcc_lo, v36, s5
	v_add_co_ci_u32_e32 v3, vcc_lo, s4, v37, vcc_lo
	s_ashr_i32 s3, s3, 1
	s_mov_b32 s4, exec_lo
	v_cmpx_gt_u32_e64 s3, v31
	s_xor_b32 s4, exec_lo, s4
	s_cbranch_execz .LBB128_128
; %bb.127:                              ;   in Loop: Header=BB128_3 Depth=1
	ds_load_u8 v5, v33 offset:16896
	s_waitcnt lgkmcnt(0)
	global_store_b8 v[2:3], v5, off
.LBB128_128:                            ;   in Loop: Header=BB128_3 Depth=1
	s_or_b32 exec_lo, exec_lo, s4
	v_cmp_gt_u32_e32 vcc_lo, s3, v34
	s_and_saveexec_b32 s3, vcc_lo
	s_cbranch_execz .LBB128_2
; %bb.129:                              ;   in Loop: Header=BB128_3 Depth=1
	s_waitcnt lgkmcnt(0)
	global_store_b8 v[2:3], v4, off offset:32
	s_branch .LBB128_2
.LBB128_130:                            ;   in Loop: Header=BB128_3 Depth=1
	global_load_b32 v38, v[6:7], off
	v_mov_b32_e32 v3, v1
	v_mov_b32_e32 v2, v1
	s_delay_alu instid0(VALU_DEP_2) | instskip(NEXT) | instid1(VALU_DEP_2)
	v_mov_b32_e32 v5, v3
	v_dual_mov_b32 v4, v2 :: v_dual_mov_b32 v3, v1
	v_mov_b32_e32 v2, v0
	s_or_b32 exec_lo, exec_lo, s3
	s_delay_alu instid0(SALU_CYCLE_1)
	s_mov_b32 s3, exec_lo
	v_cmpx_gt_u32_e64 s11, v10
	s_cbranch_execz .LBB128_5
.LBB128_131:                            ;   in Loop: Header=BB128_3 Depth=1
	global_load_b32 v3, v[6:7], off offset:128
	s_or_b32 exec_lo, exec_lo, s3
	s_delay_alu instid0(SALU_CYCLE_1)
	s_mov_b32 s3, exec_lo
	v_cmpx_gt_u32_e64 s11, v11
	s_cbranch_execz .LBB128_6
.LBB128_132:                            ;   in Loop: Header=BB128_3 Depth=1
	global_load_b32 v4, v[6:7], off offset:256
	s_or_b32 exec_lo, exec_lo, s3
	s_delay_alu instid0(SALU_CYCLE_1)
	s_mov_b32 s3, exec_lo
	v_cmpx_gt_u32_e64 s11, v12
	s_cbranch_execnz .LBB128_7
	s_branch .LBB128_8
.LBB128_133:
	s_nop 0
	s_sendmsg sendmsg(MSG_DEALLOC_VGPRS)
	s_endpgm
	.section	.rodata,"a",@progbits
	.p2align	6, 0x0
	.amdhsa_kernel _Z18kQuantizeBlockwiseIfLi4096ELi4ELi0ELi2EEvPfPT_S0_PhS0_ii
		.amdhsa_group_segment_fixed_size 19140
		.amdhsa_private_segment_fixed_size 0
		.amdhsa_kernarg_size 304
		.amdhsa_user_sgpr_count 15
		.amdhsa_user_sgpr_dispatch_ptr 0
		.amdhsa_user_sgpr_queue_ptr 0
		.amdhsa_user_sgpr_kernarg_segment_ptr 1
		.amdhsa_user_sgpr_dispatch_id 0
		.amdhsa_user_sgpr_private_segment_size 0
		.amdhsa_wavefront_size32 1
		.amdhsa_uses_dynamic_stack 0
		.amdhsa_enable_private_segment 0
		.amdhsa_system_sgpr_workgroup_id_x 1
		.amdhsa_system_sgpr_workgroup_id_y 0
		.amdhsa_system_sgpr_workgroup_id_z 0
		.amdhsa_system_sgpr_workgroup_info 0
		.amdhsa_system_vgpr_workitem_id 0
		.amdhsa_next_free_vgpr 42
		.amdhsa_next_free_sgpr 19
		.amdhsa_reserve_vcc 1
		.amdhsa_float_round_mode_32 0
		.amdhsa_float_round_mode_16_64 0
		.amdhsa_float_denorm_mode_32 3
		.amdhsa_float_denorm_mode_16_64 3
		.amdhsa_dx10_clamp 1
		.amdhsa_ieee_mode 1
		.amdhsa_fp16_overflow 0
		.amdhsa_workgroup_processor_mode 1
		.amdhsa_memory_ordered 1
		.amdhsa_forward_progress 0
		.amdhsa_shared_vgpr_count 0
		.amdhsa_exception_fp_ieee_invalid_op 0
		.amdhsa_exception_fp_denorm_src 0
		.amdhsa_exception_fp_ieee_div_zero 0
		.amdhsa_exception_fp_ieee_overflow 0
		.amdhsa_exception_fp_ieee_underflow 0
		.amdhsa_exception_fp_ieee_inexact 0
		.amdhsa_exception_int_div_zero 0
	.end_amdhsa_kernel
	.section	.text._Z18kQuantizeBlockwiseIfLi4096ELi4ELi0ELi2EEvPfPT_S0_PhS0_ii,"axG",@progbits,_Z18kQuantizeBlockwiseIfLi4096ELi4ELi0ELi2EEvPfPT_S0_PhS0_ii,comdat
.Lfunc_end128:
	.size	_Z18kQuantizeBlockwiseIfLi4096ELi4ELi0ELi2EEvPfPT_S0_PhS0_ii, .Lfunc_end128-_Z18kQuantizeBlockwiseIfLi4096ELi4ELi0ELi2EEvPfPT_S0_PhS0_ii
                                        ; -- End function
	.section	.AMDGPU.csdata,"",@progbits
; Kernel info:
; codeLenInByte = 3196
; NumSgprs: 21
; NumVgprs: 42
; ScratchSize: 0
; MemoryBound: 0
; FloatMode: 240
; IeeeMode: 1
; LDSByteSize: 19140 bytes/workgroup (compile time only)
; SGPRBlocks: 2
; VGPRBlocks: 5
; NumSGPRsForWavesPerEU: 21
; NumVGPRsForWavesPerEU: 42
; Occupancy: 16
; WaveLimiterHint : 0
; COMPUTE_PGM_RSRC2:SCRATCH_EN: 0
; COMPUTE_PGM_RSRC2:USER_SGPR: 15
; COMPUTE_PGM_RSRC2:TRAP_HANDLER: 0
; COMPUTE_PGM_RSRC2:TGID_X_EN: 1
; COMPUTE_PGM_RSRC2:TGID_Y_EN: 0
; COMPUTE_PGM_RSRC2:TGID_Z_EN: 0
; COMPUTE_PGM_RSRC2:TIDIG_COMP_CNT: 0
	.section	.text._Z18kQuantizeBlockwiseIfLi2048ELi4ELi0ELi2EEvPfPT_S0_PhS0_ii,"axG",@progbits,_Z18kQuantizeBlockwiseIfLi2048ELi4ELi0ELi2EEvPfPT_S0_PhS0_ii,comdat
